;; amdgpu-corpus repo=ROCm/rocFFT kind=compiled arch=gfx906 opt=O3
	.text
	.amdgcn_target "amdgcn-amd-amdhsa--gfx906"
	.amdhsa_code_object_version 6
	.protected	fft_rtc_fwd_len88_factors_11_8_wgs_121_tpt_11_halfLds_dp_op_CI_CI_sbrr_dirReg ; -- Begin function fft_rtc_fwd_len88_factors_11_8_wgs_121_tpt_11_halfLds_dp_op_CI_CI_sbrr_dirReg
	.globl	fft_rtc_fwd_len88_factors_11_8_wgs_121_tpt_11_halfLds_dp_op_CI_CI_sbrr_dirReg
	.p2align	8
	.type	fft_rtc_fwd_len88_factors_11_8_wgs_121_tpt_11_halfLds_dp_op_CI_CI_sbrr_dirReg,@function
fft_rtc_fwd_len88_factors_11_8_wgs_121_tpt_11_halfLds_dp_op_CI_CI_sbrr_dirReg: ; @fft_rtc_fwd_len88_factors_11_8_wgs_121_tpt_11_halfLds_dp_op_CI_CI_sbrr_dirReg
; %bb.0:
	s_load_dwordx4 s[16:19], s[4:5], 0x18
	s_load_dwordx4 s[12:15], s[4:5], 0x0
	;; [unrolled: 1-line block ×3, first 2 shown]
	v_mul_u32_u24_e32 v1, 0x1746, v0
	v_lshrrev_b32_e32 v1, 16, v1
	s_waitcnt lgkmcnt(0)
	s_load_dwordx2 s[20:21], s[16:17], 0x0
	s_load_dwordx2 s[2:3], s[18:19], 0x0
	v_mad_u64_u32 v[44:45], s[0:1], s6, 11, v[1:2]
	v_mov_b32_e32 v1, 0
	v_mov_b32_e32 v46, 0
	;; [unrolled: 1-line block ×3, first 2 shown]
	v_cmp_lt_u64_e64 s[0:1], s[14:15], 2
	v_mov_b32_e32 v47, 0
	v_mov_b32_e32 v57, v47
	;; [unrolled: 1-line block ×3, first 2 shown]
	s_and_b64 vcc, exec, s[0:1]
	v_mov_b32_e32 v56, v46
	v_mov_b32_e32 v58, v44
	s_cbranch_vccnz .LBB0_8
; %bb.1:
	s_load_dwordx2 s[0:1], s[4:5], 0x10
	s_add_u32 s6, s18, 8
	s_addc_u32 s7, s19, 0
	s_add_u32 s22, s16, 8
	v_mov_b32_e32 v46, 0
	s_addc_u32 s23, s17, 0
	v_mov_b32_e32 v47, 0
	s_waitcnt lgkmcnt(0)
	s_add_u32 s24, s0, 8
	v_mov_b32_e32 v57, v47
	v_mov_b32_e32 v3, v44
	s_addc_u32 s25, s1, 0
	s_mov_b64 s[26:27], 1
	v_mov_b32_e32 v56, v46
	v_mov_b32_e32 v4, v45
.LBB0_2:                                ; =>This Inner Loop Header: Depth=1
	s_load_dwordx2 s[28:29], s[24:25], 0x0
                                        ; implicit-def: $vgpr58_vgpr59
	s_waitcnt lgkmcnt(0)
	v_or_b32_e32 v2, s29, v4
	v_cmp_ne_u64_e32 vcc, 0, v[1:2]
	s_and_saveexec_b64 s[0:1], vcc
	s_xor_b64 s[30:31], exec, s[0:1]
	s_cbranch_execz .LBB0_4
; %bb.3:                                ;   in Loop: Header=BB0_2 Depth=1
	v_cvt_f32_u32_e32 v2, s28
	v_cvt_f32_u32_e32 v5, s29
	s_sub_u32 s0, 0, s28
	s_subb_u32 s1, 0, s29
	v_mac_f32_e32 v2, 0x4f800000, v5
	v_rcp_f32_e32 v2, v2
	v_mul_f32_e32 v2, 0x5f7ffffc, v2
	v_mul_f32_e32 v5, 0x2f800000, v2
	v_trunc_f32_e32 v5, v5
	v_mac_f32_e32 v2, 0xcf800000, v5
	v_cvt_u32_f32_e32 v5, v5
	v_cvt_u32_f32_e32 v2, v2
	v_mul_lo_u32 v6, s0, v5
	v_mul_hi_u32 v7, s0, v2
	v_mul_lo_u32 v9, s1, v2
	v_mul_lo_u32 v8, s0, v2
	v_add_u32_e32 v6, v7, v6
	v_add_u32_e32 v6, v6, v9
	v_mul_hi_u32 v7, v2, v8
	v_mul_lo_u32 v9, v2, v6
	v_mul_hi_u32 v11, v2, v6
	v_mul_hi_u32 v10, v5, v8
	v_mul_lo_u32 v8, v5, v8
	v_mul_hi_u32 v12, v5, v6
	v_add_co_u32_e32 v7, vcc, v7, v9
	v_addc_co_u32_e32 v9, vcc, 0, v11, vcc
	v_mul_lo_u32 v6, v5, v6
	v_add_co_u32_e32 v7, vcc, v7, v8
	v_addc_co_u32_e32 v7, vcc, v9, v10, vcc
	v_addc_co_u32_e32 v8, vcc, 0, v12, vcc
	v_add_co_u32_e32 v6, vcc, v7, v6
	v_addc_co_u32_e32 v7, vcc, 0, v8, vcc
	v_add_co_u32_e32 v2, vcc, v2, v6
	v_addc_co_u32_e32 v5, vcc, v5, v7, vcc
	v_mul_lo_u32 v6, s0, v5
	v_mul_hi_u32 v7, s0, v2
	v_mul_lo_u32 v8, s1, v2
	v_mul_lo_u32 v9, s0, v2
	v_add_u32_e32 v6, v7, v6
	v_add_u32_e32 v6, v6, v8
	v_mul_lo_u32 v10, v2, v6
	v_mul_hi_u32 v11, v2, v9
	v_mul_hi_u32 v12, v2, v6
	;; [unrolled: 1-line block ×3, first 2 shown]
	v_mul_lo_u32 v9, v5, v9
	v_mul_hi_u32 v7, v5, v6
	v_add_co_u32_e32 v10, vcc, v11, v10
	v_addc_co_u32_e32 v11, vcc, 0, v12, vcc
	v_mul_lo_u32 v6, v5, v6
	v_add_co_u32_e32 v9, vcc, v10, v9
	v_addc_co_u32_e32 v8, vcc, v11, v8, vcc
	v_addc_co_u32_e32 v7, vcc, 0, v7, vcc
	v_add_co_u32_e32 v6, vcc, v8, v6
	v_addc_co_u32_e32 v7, vcc, 0, v7, vcc
	v_add_co_u32_e32 v2, vcc, v2, v6
	v_addc_co_u32_e32 v7, vcc, v5, v7, vcc
	v_mad_u64_u32 v[5:6], s[0:1], v3, v7, 0
	v_mul_hi_u32 v8, v3, v2
	v_add_co_u32_e32 v9, vcc, v8, v5
	v_addc_co_u32_e32 v10, vcc, 0, v6, vcc
	v_mad_u64_u32 v[5:6], s[0:1], v4, v2, 0
	v_mad_u64_u32 v[7:8], s[0:1], v4, v7, 0
	v_add_co_u32_e32 v2, vcc, v9, v5
	v_addc_co_u32_e32 v2, vcc, v10, v6, vcc
	v_addc_co_u32_e32 v5, vcc, 0, v8, vcc
	v_add_co_u32_e32 v2, vcc, v2, v7
	v_addc_co_u32_e32 v7, vcc, 0, v5, vcc
	v_mul_lo_u32 v8, s29, v2
	v_mul_lo_u32 v9, s28, v7
	v_mad_u64_u32 v[5:6], s[0:1], s28, v2, 0
	v_add3_u32 v6, v6, v9, v8
	v_sub_u32_e32 v8, v4, v6
	v_mov_b32_e32 v9, s29
	v_sub_co_u32_e32 v5, vcc, v3, v5
	v_subb_co_u32_e64 v8, s[0:1], v8, v9, vcc
	v_subrev_co_u32_e64 v9, s[0:1], s28, v5
	v_subbrev_co_u32_e64 v8, s[0:1], 0, v8, s[0:1]
	v_cmp_le_u32_e64 s[0:1], s29, v8
	v_cndmask_b32_e64 v10, 0, -1, s[0:1]
	v_cmp_le_u32_e64 s[0:1], s28, v9
	v_cndmask_b32_e64 v9, 0, -1, s[0:1]
	v_cmp_eq_u32_e64 s[0:1], s29, v8
	v_cndmask_b32_e64 v8, v10, v9, s[0:1]
	v_add_co_u32_e64 v9, s[0:1], 2, v2
	v_addc_co_u32_e64 v10, s[0:1], 0, v7, s[0:1]
	v_add_co_u32_e64 v11, s[0:1], 1, v2
	v_addc_co_u32_e64 v12, s[0:1], 0, v7, s[0:1]
	v_subb_co_u32_e32 v6, vcc, v4, v6, vcc
	v_cmp_ne_u32_e64 s[0:1], 0, v8
	v_cmp_le_u32_e32 vcc, s29, v6
	v_cndmask_b32_e64 v8, v12, v10, s[0:1]
	v_cndmask_b32_e64 v10, 0, -1, vcc
	v_cmp_le_u32_e32 vcc, s28, v5
	v_cndmask_b32_e64 v5, 0, -1, vcc
	v_cmp_eq_u32_e32 vcc, s29, v6
	v_cndmask_b32_e32 v5, v10, v5, vcc
	v_cmp_ne_u32_e32 vcc, 0, v5
	v_cndmask_b32_e64 v5, v11, v9, s[0:1]
	v_cndmask_b32_e32 v59, v7, v8, vcc
	v_cndmask_b32_e32 v58, v2, v5, vcc
.LBB0_4:                                ;   in Loop: Header=BB0_2 Depth=1
	s_andn2_saveexec_b64 s[0:1], s[30:31]
	s_cbranch_execz .LBB0_6
; %bb.5:                                ;   in Loop: Header=BB0_2 Depth=1
	v_cvt_f32_u32_e32 v2, s28
	s_sub_i32 s30, 0, s28
	v_mov_b32_e32 v59, v1
	v_rcp_iflag_f32_e32 v2, v2
	v_mul_f32_e32 v2, 0x4f7ffffe, v2
	v_cvt_u32_f32_e32 v2, v2
	v_mul_lo_u32 v5, s30, v2
	v_mul_hi_u32 v5, v2, v5
	v_add_u32_e32 v2, v2, v5
	v_mul_hi_u32 v2, v3, v2
	v_mul_lo_u32 v5, v2, s28
	v_add_u32_e32 v6, 1, v2
	v_sub_u32_e32 v5, v3, v5
	v_subrev_u32_e32 v7, s28, v5
	v_cmp_le_u32_e32 vcc, s28, v5
	v_cndmask_b32_e32 v5, v5, v7, vcc
	v_cndmask_b32_e32 v2, v2, v6, vcc
	v_add_u32_e32 v6, 1, v2
	v_cmp_le_u32_e32 vcc, s28, v5
	v_cndmask_b32_e32 v58, v2, v6, vcc
.LBB0_6:                                ;   in Loop: Header=BB0_2 Depth=1
	s_or_b64 exec, exec, s[0:1]
	v_mul_lo_u32 v2, v59, s28
	v_mul_lo_u32 v7, v58, s29
	v_mad_u64_u32 v[5:6], s[0:1], v58, s28, 0
	s_load_dwordx2 s[0:1], s[22:23], 0x0
	s_load_dwordx2 s[28:29], s[6:7], 0x0
	v_add3_u32 v2, v6, v7, v2
	v_sub_co_u32_e32 v3, vcc, v3, v5
	v_subb_co_u32_e32 v2, vcc, v4, v2, vcc
	s_waitcnt lgkmcnt(0)
	v_mul_lo_u32 v4, s0, v2
	v_mul_lo_u32 v5, s1, v3
	v_mad_u64_u32 v[46:47], s[0:1], s0, v3, v[46:47]
	v_mul_lo_u32 v2, s28, v2
	v_mul_lo_u32 v6, s29, v3
	v_mad_u64_u32 v[56:57], s[0:1], s28, v3, v[56:57]
	s_add_u32 s26, s26, 1
	s_addc_u32 s27, s27, 0
	s_add_u32 s6, s6, 8
	v_add3_u32 v57, v6, v57, v2
	s_addc_u32 s7, s7, 0
	v_mov_b32_e32 v2, s14
	s_add_u32 s22, s22, 8
	v_mov_b32_e32 v3, s15
	s_addc_u32 s23, s23, 0
	v_cmp_ge_u64_e32 vcc, s[26:27], v[2:3]
	s_add_u32 s24, s24, 8
	v_add3_u32 v47, v5, v47, v4
	s_addc_u32 s25, s25, 0
	s_cbranch_vccnz .LBB0_8
; %bb.7:                                ;   in Loop: Header=BB0_2 Depth=1
	v_mov_b32_e32 v3, v58
	v_mov_b32_e32 v4, v59
	s_branch .LBB0_2
.LBB0_8:
	s_lshl_b64 s[22:23], s[14:15], 3
	s_load_dwordx2 s[0:1], s[4:5], 0x28
	s_add_u32 s4, s18, s22
	s_mov_b32 s5, 0x1745d175
	v_mul_hi_u32 v1, v0, s5
	s_addc_u32 s5, s19, s23
	s_load_dwordx2 s[4:5], s[4:5], 0x0
	s_waitcnt lgkmcnt(0)
	v_cmp_gt_u64_e32 vcc, s[0:1], v[58:59]
	v_mul_u32_u24_e32 v1, 11, v1
	v_sub_u32_e32 v63, v0, v1
	v_mov_b32_e32 v62, 0
                                        ; implicit-def: $vgpr42_vgpr43
                                        ; implicit-def: $vgpr18_vgpr19
                                        ; implicit-def: $vgpr10_vgpr11
                                        ; implicit-def: $vgpr6_vgpr7
                                        ; implicit-def: $vgpr30_vgpr31
                                        ; implicit-def: $vgpr34_vgpr35
                                        ; implicit-def: $vgpr22_vgpr23
                                        ; implicit-def: $vgpr14_vgpr15
                                        ; implicit-def: $vgpr2_vgpr3
                                        ; implicit-def: $vgpr38_vgpr39
                                        ; implicit-def: $vgpr26_vgpr27
	s_and_saveexec_b64 s[6:7], vcc
	s_cbranch_execz .LBB0_12
; %bb.9:
	v_cmp_gt_u32_e64 s[0:1], 8, v63
                                        ; implicit-def: $vgpr24_vgpr25
                                        ; implicit-def: $vgpr36_vgpr37
                                        ; implicit-def: $vgpr0_vgpr1
                                        ; implicit-def: $vgpr12_vgpr13
                                        ; implicit-def: $vgpr20_vgpr21
                                        ; implicit-def: $vgpr32_vgpr33
                                        ; implicit-def: $vgpr28_vgpr29
                                        ; implicit-def: $vgpr4_vgpr5
                                        ; implicit-def: $vgpr8_vgpr9
                                        ; implicit-def: $vgpr16_vgpr17
                                        ; implicit-def: $vgpr40_vgpr41
	s_and_saveexec_b64 s[14:15], s[0:1]
	s_cbranch_execz .LBB0_11
; %bb.10:
	s_add_u32 s0, s16, s22
	s_addc_u32 s1, s17, s23
	s_load_dwordx2 s[0:1], s[0:1], 0x0
	v_mad_u64_u32 v[0:1], s[16:17], s20, v63, 0
	v_or_b32_e32 v8, 8, v63
	s_waitcnt lgkmcnt(0)
	v_mul_lo_u32 v6, s1, v58
	v_mul_lo_u32 v7, s0, v59
	v_mad_u64_u32 v[2:3], s[0:1], s0, v58, 0
	v_mad_u64_u32 v[4:5], s[0:1], s21, v63, v[1:2]
	v_add3_u32 v3, v3, v7, v6
	v_lshlrev_b64 v[2:3], 4, v[2:3]
	v_mov_b32_e32 v1, v4
	v_mov_b32_e32 v4, s9
	v_add_co_u32_e64 v6, s[0:1], s8, v2
	v_addc_co_u32_e64 v7, s[0:1], v4, v3, s[0:1]
	v_mad_u64_u32 v[4:5], s[0:1], s20, v8, 0
	v_lshlrev_b64 v[2:3], 4, v[46:47]
	v_lshlrev_b64 v[0:1], 4, v[0:1]
	v_add_co_u32_e64 v9, s[0:1], v6, v2
	v_mov_b32_e32 v2, v5
	v_addc_co_u32_e64 v10, s[0:1], v7, v3, s[0:1]
	v_mad_u64_u32 v[2:3], s[0:1], s21, v8, v[2:3]
	v_or_b32_e32 v3, 16, v63
	v_mad_u64_u32 v[6:7], s[0:1], s20, v3, 0
	v_add_co_u32_e64 v45, s[0:1], v9, v0
	v_mov_b32_e32 v5, v2
	v_mov_b32_e32 v2, v7
	v_addc_co_u32_e64 v46, s[0:1], v10, v1, s[0:1]
	v_lshlrev_b64 v[0:1], 4, v[4:5]
	v_mad_u64_u32 v[2:3], s[0:1], s21, v3, v[2:3]
	v_or_b32_e32 v5, 24, v63
	v_mad_u64_u32 v[3:4], s[0:1], s20, v5, 0
	v_add_co_u32_e64 v47, s[0:1], v9, v0
	v_mov_b32_e32 v7, v2
	v_mov_b32_e32 v2, v4
	v_addc_co_u32_e64 v48, s[0:1], v10, v1, s[0:1]
	v_lshlrev_b64 v[0:1], 4, v[6:7]
	v_mad_u64_u32 v[4:5], s[0:1], s21, v5, v[2:3]
	v_or_b32_e32 v7, 32, v63
	v_mad_u64_u32 v[5:6], s[0:1], s20, v7, 0
	v_add_co_u32_e64 v49, s[0:1], v9, v0
	v_mov_b32_e32 v2, v6
	v_addc_co_u32_e64 v50, s[0:1], v10, v1, s[0:1]
	v_lshlrev_b64 v[0:1], 4, v[3:4]
	v_mad_u64_u32 v[2:3], s[0:1], s21, v7, v[2:3]
	v_or_b32_e32 v7, 40, v63
	v_mad_u64_u32 v[3:4], s[0:1], s20, v7, 0
	v_add_co_u32_e64 v51, s[0:1], v9, v0
	v_mov_b32_e32 v6, v2
	v_mov_b32_e32 v2, v4
	v_addc_co_u32_e64 v52, s[0:1], v10, v1, s[0:1]
	v_lshlrev_b64 v[0:1], 4, v[5:6]
	v_mad_u64_u32 v[4:5], s[0:1], s21, v7, v[2:3]
	v_or_b32_e32 v7, 48, v63
	v_mad_u64_u32 v[5:6], s[0:1], s20, v7, 0
	v_add_co_u32_e64 v53, s[0:1], v9, v0
	;; [unrolled: 15-line block ×4, first 2 shown]
	v_mov_b32_e32 v2, v6
	v_addc_co_u32_e64 v69, s[0:1], v10, v1, s[0:1]
	v_lshlrev_b64 v[0:1], 4, v[3:4]
	v_mad_u64_u32 v[2:3], s[0:1], s21, v7, v[2:3]
	v_add_co_u32_e64 v70, s[0:1], v9, v0
	v_mov_b32_e32 v6, v2
	v_addc_co_u32_e64 v71, s[0:1], v10, v1, s[0:1]
	v_lshlrev_b64 v[0:1], 4, v[5:6]
	v_add_co_u32_e64 v72, s[0:1], v9, v0
	v_addc_co_u32_e64 v73, s[0:1], v10, v1, s[0:1]
	global_load_dwordx4 v[24:27], v[45:46], off
	global_load_dwordx4 v[40:43], v[47:48], off
	;; [unrolled: 1-line block ×11, first 2 shown]
.LBB0_11:
	s_or_b64 exec, exec, s[14:15]
	v_mov_b32_e32 v62, v63
.LBB0_12:
	s_or_b64 exec, exec, s[6:7]
	s_mov_b32 s0, 0xba2e8ba3
	v_mul_hi_u32 v45, v44, s0
	v_cmp_gt_u32_e64 s[0:1], 8, v63
	v_lshrrev_b32_e32 v45, 3, v45
	v_mul_lo_u32 v45, v45, 11
	v_sub_u32_e32 v44, v44, v45
	v_mul_u32_u24_e32 v44, 0x58, v44
	v_lshlrev_b32_e32 v64, 3, v44
	s_and_saveexec_b64 s[6:7], s[0:1]
	s_cbranch_execz .LBB0_14
; %bb.13:
	s_waitcnt vmcnt(0)
	v_add_f64 v[48:49], v[42:43], -v[30:31]
	s_mov_b32 s14, 0xf8bb580b
	v_add_f64 v[44:45], v[10:11], -v[14:15]
	v_add_f64 v[46:47], v[2:3], -v[6:7]
	;; [unrolled: 1-line block ×3, first 2 shown]
	s_mov_b32 s15, 0x3fe14ced
	s_mov_b32 s9, 0xbfe14ced
	;; [unrolled: 1-line block ×3, first 2 shown]
	v_add_f64 v[52:53], v[40:41], v[28:29]
	v_mul_f64 v[54:55], v[48:49], s[8:9]
	v_add_f64 v[65:66], v[38:39], -v[34:35]
	s_mov_b32 s17, 0x3fed1bb4
	s_mov_b32 s16, 0x8eee2c13
	;; [unrolled: 1-line block ×3, first 2 shown]
	v_mul_f64 v[60:61], v[44:45], s[16:17]
	s_mov_b32 s19, 0x3feaeb8c
	v_mul_f64 v[67:68], v[46:47], s[16:17]
	v_mul_f64 v[69:70], v[50:51], s[16:17]
	s_mov_b32 s17, 0xbfed1bb4
	v_fma_f64 v[71:72], v[52:53], s[18:19], -v[54:55]
	v_add_f64 v[73:74], v[32:33], v[36:37]
	v_mul_f64 v[75:76], v[65:66], s[16:17]
	s_mov_b32 s20, 0xd9c712b6
	s_mov_b32 s21, 0x3fda9628
	;; [unrolled: 1-line block ×4, first 2 shown]
	v_mul_f64 v[79:80], v[50:51], s[34:35]
	v_add_f64 v[71:72], v[71:72], v[24:25]
	s_mov_b32 s22, 0x640f44db
	v_fma_f64 v[77:78], v[73:74], s[20:21], -v[75:76]
	s_mov_b32 s23, 0xbfc2375f
	s_mov_b32 s30, 0xbb3a28a1
	;; [unrolled: 1-line block ×3, first 2 shown]
	v_mul_f64 v[83:84], v[44:45], s[30:31]
	s_mov_b32 s24, 0x7f775887
	s_mov_b32 s25, 0xbfe4f49e
	;; [unrolled: 1-line block ×3, first 2 shown]
	v_add_f64 v[71:72], v[77:78], v[71:72]
	v_add_f64 v[77:78], v[16:17], v[20:21]
	s_mov_b32 s29, 0xbfd207e7
	v_mul_f64 v[87:88], v[46:47], s[28:29]
	s_mov_b32 s26, 0x9bcd5057
	s_mov_b32 s27, 0xbfeeb42a
	;; [unrolled: 1-line block ×4, first 2 shown]
	v_mul_f64 v[93:94], v[65:66], s[36:37]
	v_fma_f64 v[81:82], v[77:78], s[22:23], -v[79:80]
	v_mul_f64 v[103:104], v[65:66], s[30:31]
	v_mul_f64 v[115:116], v[65:66], s[14:15]
	v_fma_f64 v[95:96], v[73:74], s[26:27], -v[93:94]
	v_add_f64 v[71:72], v[81:82], v[71:72]
	v_add_f64 v[81:82], v[8:9], v[12:13]
	v_fma_f64 v[105:106], v[73:74], s[24:25], -v[103:104]
	v_fma_f64 v[117:118], v[73:74], s[18:19], -v[115:116]
	v_fma_f64 v[115:116], v[73:74], s[18:19], v[115:116]
	v_fma_f64 v[85:86], v[81:82], s[24:25], -v[83:84]
	v_add_f64 v[71:72], v[85:86], v[71:72]
	v_add_f64 v[85:86], v[4:5], v[0:1]
	v_fma_f64 v[89:90], v[85:86], s[26:27], -v[87:88]
	v_add_f64 v[71:72], v[89:90], v[71:72]
	v_mul_f64 v[89:90], v[48:49], s[34:35]
	v_fma_f64 v[91:92], v[52:53], s[22:23], -v[89:90]
	v_add_f64 v[91:92], v[91:92], v[24:25]
	v_add_f64 v[91:92], v[95:96], v[91:92]
	v_fma_f64 v[95:96], v[77:78], s[20:21], -v[69:70]
	v_add_f64 v[91:92], v[95:96], v[91:92]
	v_mul_f64 v[95:96], v[44:45], s[8:9]
	v_fma_f64 v[97:98], v[81:82], s[18:19], -v[95:96]
	v_add_f64 v[91:92], v[97:98], v[91:92]
	v_mul_f64 v[97:98], v[46:47], s[30:31]
	;; [unrolled: 3-line block ×3, first 2 shown]
	s_mov_b32 s17, 0x3fefac9e
	s_mov_b32 s16, s34
	v_mul_f64 v[65:66], v[65:66], s[16:17]
	v_fma_f64 v[101:102], v[52:53], s[20:21], -v[99:100]
	v_fma_f64 v[121:122], v[73:74], s[22:23], -v[65:66]
	v_fma_f64 v[65:66], v[73:74], s[22:23], v[65:66]
	v_add_f64 v[101:102], v[101:102], v[24:25]
	v_add_f64 v[101:102], v[105:106], v[101:102]
	v_mul_f64 v[105:106], v[50:51], s[36:37]
	v_fma_f64 v[107:108], v[77:78], s[26:27], -v[105:106]
	v_add_f64 v[101:102], v[107:108], v[101:102]
	v_mul_f64 v[107:108], v[44:45], s[16:17]
	v_mul_f64 v[44:45], v[44:45], s[28:29]
	v_fma_f64 v[109:110], v[81:82], s[22:23], -v[107:108]
	v_add_f64 v[101:102], v[109:110], v[101:102]
	v_mul_f64 v[109:110], v[46:47], s[14:15]
	;; [unrolled: 4-line block ×3, first 2 shown]
	v_mul_f64 v[48:49], v[48:49], s[30:31]
	v_fma_f64 v[113:114], v[52:53], s[26:27], -v[111:112]
	v_fma_f64 v[111:112], v[52:53], s[26:27], v[111:112]
	v_add_f64 v[113:114], v[113:114], v[24:25]
	v_add_f64 v[111:112], v[111:112], v[24:25]
	;; [unrolled: 1-line block ×3, first 2 shown]
	v_mul_f64 v[117:118], v[50:51], s[30:31]
	v_mul_f64 v[50:51], v[50:51], s[8:9]
	v_add_f64 v[111:112], v[115:116], v[111:112]
	v_fma_f64 v[119:120], v[77:78], s[24:25], -v[117:118]
	v_fma_f64 v[115:116], v[77:78], s[24:25], v[117:118]
	v_add_f64 v[113:114], v[119:120], v[113:114]
	v_fma_f64 v[119:120], v[81:82], s[20:21], -v[60:61]
	v_add_f64 v[111:112], v[115:116], v[111:112]
	v_fma_f64 v[60:61], v[81:82], s[20:21], v[60:61]
	v_add_f64 v[113:114], v[119:120], v[113:114]
	v_fma_f64 v[119:120], v[85:86], s[22:23], -v[46:47]
	v_add_f64 v[60:61], v[60:61], v[111:112]
	v_fma_f64 v[46:47], v[85:86], s[22:23], v[46:47]
	v_add_f64 v[113:114], v[119:120], v[113:114]
	v_fma_f64 v[119:120], v[52:53], s[24:25], -v[48:49]
	v_fma_f64 v[48:49], v[52:53], s[24:25], v[48:49]
	v_add_f64 v[46:47], v[46:47], v[60:61]
	v_add_f64 v[119:120], v[119:120], v[24:25]
	;; [unrolled: 1-line block ×4, first 2 shown]
	v_fma_f64 v[121:122], v[77:78], s[18:19], -v[50:51]
	v_add_f64 v[48:49], v[65:66], v[48:49]
	v_fma_f64 v[50:51], v[77:78], s[18:19], v[50:51]
	v_fma_f64 v[65:66], v[73:74], s[24:25], v[103:104]
	v_add_f64 v[119:120], v[121:122], v[119:120]
	v_fma_f64 v[121:122], v[81:82], s[26:27], -v[44:45]
	v_add_f64 v[48:49], v[50:51], v[48:49]
	v_fma_f64 v[44:45], v[81:82], s[26:27], v[44:45]
	v_fma_f64 v[50:51], v[73:74], s[26:27], v[93:94]
	v_add_f64 v[119:120], v[121:122], v[119:120]
	v_fma_f64 v[121:122], v[85:86], s[20:21], -v[67:68]
	v_add_f64 v[44:45], v[44:45], v[48:49]
	v_fma_f64 v[48:49], v[52:53], s[22:23], v[89:90]
	v_add_f64 v[119:120], v[121:122], v[119:120]
	v_add_f64 v[48:49], v[48:49], v[24:25]
	;; [unrolled: 1-line block ×3, first 2 shown]
	v_fma_f64 v[50:51], v[77:78], s[20:21], v[69:70]
	v_fma_f64 v[69:70], v[81:82], s[22:23], v[107:108]
	v_add_f64 v[48:49], v[50:51], v[48:49]
	v_fma_f64 v[50:51], v[52:53], s[20:21], v[99:100]
	v_fma_f64 v[52:53], v[52:53], s[18:19], v[54:55]
	;; [unrolled: 1-line block ×3, first 2 shown]
	v_add_f64 v[50:51], v[50:51], v[24:25]
	v_add_f64 v[52:53], v[52:53], v[24:25]
	;; [unrolled: 1-line block ×4, first 2 shown]
	v_fma_f64 v[65:66], v[73:74], s[20:21], v[75:76]
	v_add_f64 v[24:25], v[36:37], v[24:25]
	v_fma_f64 v[73:74], v[81:82], s[24:25], v[83:84]
	v_add_f64 v[50:51], v[54:55], v[50:51]
	;; [unrolled: 2-line block ×3, first 2 shown]
	v_add_f64 v[52:53], v[65:66], v[52:53]
	v_fma_f64 v[65:66], v[81:82], s[18:19], v[95:96]
	v_add_f64 v[50:51], v[69:70], v[50:51]
	v_fma_f64 v[69:70], v[85:86], s[26:27], v[87:88]
	v_add_f64 v[24:25], v[8:9], v[24:25]
	v_add_f64 v[52:53], v[54:55], v[52:53]
	v_fma_f64 v[54:55], v[85:86], s[20:21], v[67:68]
	v_add_f64 v[48:49], v[65:66], v[48:49]
	v_fma_f64 v[65:66], v[85:86], s[24:25], v[97:98]
	v_fma_f64 v[67:68], v[85:86], s[18:19], v[109:110]
	v_add_f64 v[24:25], v[0:1], v[24:25]
	v_add_f64 v[52:53], v[73:74], v[52:53]
	;; [unrolled: 1-line block ×3, first 2 shown]
	v_mul_u32_u24_e32 v54, 0x58, v63
	v_add_f64 v[48:49], v[65:66], v[48:49]
	v_add_f64 v[50:51], v[67:68], v[50:51]
	v_add3_u32 v54, 0, v54, v64
	v_add_f64 v[24:25], v[4:5], v[24:25]
	v_add_f64 v[52:53], v[69:70], v[52:53]
	;; [unrolled: 1-line block ×6, first 2 shown]
	ds_write2_b64 v54, v[24:25], v[71:72] offset1:1
	ds_write2_b64 v54, v[101:102], v[91:92] offset0:2 offset1:3
	ds_write2_b64 v54, v[119:120], v[113:114] offset0:4 offset1:5
	;; [unrolled: 1-line block ×4, first 2 shown]
	ds_write_b64 v54, v[52:53] offset:80
.LBB0_14:
	s_or_b64 exec, exec, s[6:7]
	s_waitcnt vmcnt(10)
	v_lshlrev_b32_e32 v24, 3, v63
	v_add_u32_e32 v67, 0, v24
	v_add_u32_e32 v65, v67, v64
	s_waitcnt vmcnt(0) lgkmcnt(0)
	s_barrier
	v_add3_u32 v66, 0, v64, v24
	ds_read2_b64 v[48:51], v65 offset0:11 offset1:22
	ds_read2_b64 v[44:47], v65 offset0:33 offset1:44
	ds_read2_b64 v[52:55], v65 offset0:55 offset1:66
	ds_read_b64 v[24:25], v66
	ds_read_b64 v[60:61], v65 offset:616
	s_waitcnt lgkmcnt(0)
	s_barrier
	s_and_saveexec_b64 s[6:7], s[0:1]
	s_cbranch_execz .LBB0_16
; %bb.15:
	v_add_f64 v[68:69], v[42:43], v[26:27]
	v_add_f64 v[28:29], v[40:41], -v[28:29]
	v_add_f64 v[32:33], v[36:37], -v[32:33]
	s_mov_b32 s26, 0xf8bb580b
	s_mov_b32 s18, 0x43842ef
	;; [unrolled: 1-line block ×5, first 2 shown]
	v_add_f64 v[40:41], v[38:39], v[68:69]
	s_mov_b32 s16, 0x8eee2c13
	s_mov_b32 s19, 0xbfefac9e
	;; [unrolled: 1-line block ×3, first 2 shown]
	v_add_f64 v[42:43], v[42:43], v[30:31]
	v_mul_f64 v[68:69], v[28:29], s[16:17]
	v_mul_f64 v[70:71], v[28:29], s[18:19]
	;; [unrolled: 1-line block ×3, first 2 shown]
	v_add_f64 v[40:41], v[18:19], v[40:41]
	s_mov_b32 s0, 0x8764f0ba
	s_mov_b32 s8, 0xd9c712b6
	;; [unrolled: 1-line block ×7, first 2 shown]
	v_add_f64 v[40:41], v[10:11], v[40:41]
	s_mov_b32 s15, 0xbfc2375f
	s_mov_b32 s21, 0xbfe4f49e
	;; [unrolled: 1-line block ×7, first 2 shown]
	v_add_f64 v[36:37], v[2:3], v[40:41]
	v_mul_f64 v[40:41], v[28:29], s[26:27]
	v_add_f64 v[38:39], v[34:35], v[38:39]
	v_mul_f64 v[28:29], v[28:29], s[28:29]
	v_mul_f64 v[74:75], v[32:33], s[16:17]
	;; [unrolled: 1-line block ×5, first 2 shown]
	v_add_f64 v[36:37], v[6:7], v[36:37]
	v_fma_f64 v[82:83], v[42:43], s[0:1], v[40:41]
	v_fma_f64 v[40:41], v[42:43], s[0:1], -v[40:41]
	v_fma_f64 v[84:85], v[42:43], s[8:9], v[68:69]
	v_fma_f64 v[68:69], v[42:43], s[8:9], -v[68:69]
	v_fma_f64 v[86:87], v[42:43], s[14:15], v[70:71]
	v_fma_f64 v[70:71], v[42:43], s[14:15], -v[70:71]
	v_fma_f64 v[88:89], v[42:43], s[20:21], v[72:73]
	v_add_f64 v[36:37], v[14:15], v[36:37]
	v_add_f64 v[16:17], v[16:17], -v[20:21]
	s_mov_b32 s24, 0x9bcd5057
	s_mov_b32 s25, 0xbfeeb42a
	;; [unrolled: 1-line block ×4, first 2 shown]
	v_fma_f64 v[72:73], v[42:43], s[20:21], -v[72:73]
	v_fma_f64 v[90:91], v[42:43], s[24:25], v[28:29]
	v_add_f64 v[36:37], v[22:23], v[36:37]
	v_fma_f64 v[28:29], v[42:43], s[24:25], -v[28:29]
	v_fma_f64 v[42:43], v[38:39], s[8:9], v[74:75]
	v_fma_f64 v[74:75], v[38:39], s[8:9], -v[74:75]
	v_fma_f64 v[92:93], v[38:39], s[20:21], v[76:77]
	v_add_f64 v[82:83], v[82:83], v[26:27]
	v_add_f64 v[40:41], v[40:41], v[26:27]
	;; [unrolled: 1-line block ×6, first 2 shown]
	v_mul_f64 v[20:21], v[32:33], s[30:31]
	v_fma_f64 v[32:33], v[38:39], s[24:25], -v[78:79]
	v_add_f64 v[18:19], v[18:19], v[22:23]
	v_mul_f64 v[22:23], v[16:17], s[18:19]
	s_mov_b32 s17, 0x3fed1bb4
	v_add_f64 v[30:31], v[30:31], v[34:35]
	v_fma_f64 v[34:35], v[38:39], s[20:21], -v[76:77]
	v_fma_f64 v[76:77], v[38:39], s[14:15], v[80:81]
	v_add_f64 v[84:85], v[84:85], v[26:27]
	v_add_f64 v[86:87], v[86:87], v[26:27]
	;; [unrolled: 1-line block ×7, first 2 shown]
	v_fma_f64 v[74:75], v[38:39], s[24:25], v[78:79]
	v_add_f64 v[34:35], v[68:69], v[34:35]
	v_fma_f64 v[68:69], v[38:39], s[14:15], -v[80:81]
	v_fma_f64 v[78:79], v[38:39], s[0:1], v[20:21]
	v_add_f64 v[32:33], v[70:71], v[32:33]
	v_add_f64 v[36:37], v[36:37], v[76:77]
	v_mul_f64 v[70:71], v[16:17], s[36:37]
	v_fma_f64 v[20:21], v[38:39], s[0:1], -v[20:21]
	v_fma_f64 v[38:39], v[18:19], s[14:15], v[22:23]
	v_fma_f64 v[22:23], v[18:19], s[14:15], -v[22:23]
	v_mul_f64 v[76:77], v[16:17], s[16:17]
	v_add_f64 v[8:9], v[8:9], -v[12:13]
	v_add_f64 v[42:43], v[84:85], v[92:93]
	v_add_f64 v[74:75], v[86:87], v[74:75]
	;; [unrolled: 1-line block ×4, first 2 shown]
	v_fma_f64 v[78:79], v[18:19], s[24:25], v[70:71]
	v_fma_f64 v[70:71], v[18:19], s[24:25], -v[70:71]
	v_add_f64 v[20:21], v[26:27], v[20:21]
	v_add_f64 v[26:27], v[38:39], v[28:29]
	;; [unrolled: 1-line block ×3, first 2 shown]
	v_mul_f64 v[12:13], v[16:17], s[26:27]
	v_fma_f64 v[28:29], v[18:19], s[8:9], v[76:77]
	v_mul_f64 v[16:17], v[16:17], s[22:23]
	v_fma_f64 v[40:41], v[18:19], s[8:9], -v[76:77]
	v_add_f64 v[10:11], v[10:11], v[14:15]
	v_mul_f64 v[14:15], v[8:9], s[22:23]
	v_add_f64 v[38:39], v[78:79], v[42:43]
	v_add_f64 v[34:35], v[70:71], v[34:35]
	v_fma_f64 v[42:43], v[18:19], s[0:1], v[12:13]
	v_add_f64 v[28:29], v[28:29], v[74:75]
	v_fma_f64 v[12:13], v[18:19], s[0:1], -v[12:13]
	v_mul_f64 v[70:71], v[8:9], s[34:35]
	v_fma_f64 v[74:75], v[18:19], s[20:21], v[16:17]
	v_fma_f64 v[16:17], v[18:19], s[20:21], -v[16:17]
	v_add_f64 v[18:19], v[40:41], v[32:33]
	v_fma_f64 v[32:33], v[10:11], s[20:21], v[14:15]
	v_fma_f64 v[14:15], v[10:11], s[20:21], -v[14:15]
	v_add_f64 v[0:1], v[0:1], -v[4:5]
	v_add_f64 v[36:37], v[42:43], v[36:37]
	v_fma_f64 v[40:41], v[10:11], s[14:15], v[70:71]
	v_add_f64 v[12:13], v[12:13], v[68:69]
	v_add_f64 v[16:17], v[16:17], v[20:21]
	v_mul_f64 v[20:21], v[8:9], s[26:27]
	v_add_f64 v[26:27], v[32:33], v[26:27]
	v_mul_f64 v[32:33], v[8:9], s[28:29]
	v_add_f64 v[14:15], v[14:15], v[22:23]
	v_fma_f64 v[22:23], v[10:11], s[14:15], -v[70:71]
	v_add_f64 v[4:5], v[40:41], v[38:39]
	v_mul_f64 v[8:9], v[8:9], s[16:17]
	v_add_f64 v[2:3], v[6:7], v[2:3]
	v_fma_f64 v[38:39], v[10:11], s[0:1], v[20:21]
	v_fma_f64 v[20:21], v[10:11], s[0:1], -v[20:21]
	v_fma_f64 v[40:41], v[10:11], s[24:25], v[32:33]
	v_mul_f64 v[6:7], v[0:1], s[28:29]
	v_fma_f64 v[32:33], v[10:11], s[24:25], -v[32:33]
	v_add_f64 v[22:23], v[22:23], v[34:35]
	v_fma_f64 v[34:35], v[10:11], s[8:9], v[8:9]
	v_fma_f64 v[8:9], v[10:11], s[8:9], -v[8:9]
	v_add_f64 v[42:43], v[74:75], v[72:73]
	v_add_f64 v[18:19], v[20:21], v[18:19]
	;; [unrolled: 1-line block ×3, first 2 shown]
	v_fma_f64 v[20:21], v[2:3], s[24:25], v[6:7]
	v_add_f64 v[12:13], v[32:33], v[12:13]
	v_mul_f64 v[32:33], v[0:1], s[30:31]
	v_mul_f64 v[36:37], v[0:1], s[22:23]
	v_add_f64 v[28:29], v[38:39], v[28:29]
	v_mul_f64 v[38:39], v[0:1], s[16:17]
	v_mul_f64 v[0:1], v[0:1], s[18:19]
	v_add_f64 v[8:9], v[8:9], v[16:17]
	v_add_f64 v[16:17], v[20:21], v[26:27]
	;; [unrolled: 1-line block ×3, first 2 shown]
	v_fma_f64 v[20:21], v[2:3], s[0:1], v[32:33]
	v_fma_f64 v[26:27], v[2:3], s[0:1], -v[32:33]
	v_fma_f64 v[32:33], v[2:3], s[20:21], v[36:37]
	v_fma_f64 v[40:41], v[2:3], s[8:9], v[38:39]
	;; [unrolled: 1-line block ×3, first 2 shown]
	v_fma_f64 v[38:39], v[2:3], s[8:9], -v[38:39]
	v_fma_f64 v[0:1], v[2:3], s[14:15], -v[0:1]
	v_fma_f64 v[6:7], v[2:3], s[24:25], -v[6:7]
	v_fma_f64 v[2:3], v[2:3], s[20:21], -v[36:37]
	v_add_f64 v[4:5], v[20:21], v[4:5]
	v_add_f64 v[20:21], v[26:27], v[22:23]
	;; [unrolled: 1-line block ×9, first 2 shown]
	v_mul_u32_u24_e32 v8, 0x50, v63
	v_add3_u32 v8, v67, v8, v64
	ds_write2_b64 v8, v[30:31], v[16:17] offset1:1
	ds_write2_b64 v8, v[4:5], v[22:23] offset0:2 offset1:3
	ds_write2_b64 v8, v[10:11], v[26:27] offset0:4 offset1:5
	;; [unrolled: 1-line block ×4, first 2 shown]
	ds_write_b64 v8, v[6:7] offset:80
.LBB0_16:
	s_or_b64 exec, exec, s[6:7]
	s_waitcnt lgkmcnt(0)
	s_barrier
	s_and_saveexec_b64 s[0:1], vcc
	s_cbranch_execz .LBB0_18
; %bb.17:
	v_mul_u32_u24_e32 v0, 7, v63
	v_lshlrev_b32_e32 v30, 4, v0
	global_load_dwordx4 v[0:3], v30, s[12:13] offset:48
	global_load_dwordx4 v[4:7], v30, s[12:13] offset:16
	;; [unrolled: 1-line block ×3, first 2 shown]
	global_load_dwordx4 v[12:15], v30, s[12:13]
	global_load_dwordx4 v[16:19], v30, s[12:13] offset:64
	global_load_dwordx4 v[20:23], v30, s[12:13] offset:32
	;; [unrolled: 1-line block ×3, first 2 shown]
	v_mul_lo_u32 v73, s5, v58
	v_mul_lo_u32 v74, s4, v59
	v_mad_u64_u32 v[42:43], s[0:1], s4, v58, 0
	v_add_u32_e32 v75, 11, v62
	ds_read2_b64 v[30:33], v65 offset0:33 offset1:44
	ds_read2_b64 v[34:37], v65 offset0:11 offset1:22
	;; [unrolled: 1-line block ×3, first 2 shown]
	ds_read_b64 v[58:59], v66
	ds_read_b64 v[63:64], v65 offset:616
	v_mad_u64_u32 v[65:66], s[6:7], s2, v62, 0
	v_add_u32_e32 v76, 22, v62
	v_mad_u64_u32 v[67:68], s[6:7], s2, v75, 0
	v_mad_u64_u32 v[69:70], s[6:7], s2, v76, 0
	v_add3_u32 v43, v43, v74, v73
	v_lshlrev_b64 v[42:43], 4, v[42:43]
	v_mov_b32_e32 v77, s11
	v_lshlrev_b64 v[56:57], 4, v[56:57]
	v_mad_u64_u32 v[73:74], s[6:7], s3, v62, v[66:67]
	v_mov_b32_e32 v66, v68
	v_add_co_u32_e32 v42, vcc, s10, v42
	v_mov_b32_e32 v68, v70
	v_mad_u64_u32 v[74:75], s[6:7], s3, v75, v[66:67]
	v_addc_co_u32_e32 v43, vcc, v77, v43, vcc
	v_mad_u64_u32 v[75:76], s[6:7], s3, v76, v[68:69]
	v_add_co_u32_e32 v87, vcc, v42, v56
	v_addc_co_u32_e32 v88, vcc, v43, v57, vcc
	s_mov_b32 s0, 0x667f3bcd
	s_mov_b32 s1, 0x3fe6a09e
	;; [unrolled: 1-line block ×4, first 2 shown]
	v_mov_b32_e32 v66, v73
	v_add_u32_e32 v86, 33, v62
	v_mad_u64_u32 v[71:72], s[6:7], s2, v86, 0
	v_mov_b32_e32 v68, v74
	v_mov_b32_e32 v70, v75
	s_waitcnt vmcnt(6)
	v_mul_f64 v[42:43], v[46:47], v[2:3]
	s_waitcnt vmcnt(5) lgkmcnt(3)
	v_mul_f64 v[56:57], v[36:37], v[6:7]
	s_waitcnt vmcnt(4) lgkmcnt(2)
	v_mul_f64 v[76:77], v[40:41], v[10:11]
	s_waitcnt vmcnt(3)
	v_mul_f64 v[78:79], v[34:35], v[14:15]
	s_waitcnt vmcnt(2)
	;; [unrolled: 2-line block ×4, first 2 shown]
	v_mul_f64 v[84:85], v[60:61], v[28:29]
	v_mul_f64 v[14:15], v[48:49], v[14:15]
	;; [unrolled: 1-line block ×4, first 2 shown]
	s_waitcnt lgkmcnt(0)
	v_mul_f64 v[28:29], v[63:64], v[28:29]
	v_mul_f64 v[2:3], v[32:33], v[2:3]
	;; [unrolled: 1-line block ×4, first 2 shown]
	v_fma_f64 v[32:33], v[32:33], v[0:1], v[42:43]
	v_fma_f64 v[42:43], v[50:51], v[4:5], -v[56:57]
	v_fma_f64 v[50:51], v[54:55], v[8:9], -v[76:77]
	;; [unrolled: 1-line block ×4, first 2 shown]
	v_fma_f64 v[30:31], v[30:31], v[20:21], v[82:83]
	v_fma_f64 v[54:55], v[63:64], v[26:27], v[84:85]
	;; [unrolled: 1-line block ×4, first 2 shown]
	v_fma_f64 v[16:17], v[44:45], v[20:21], -v[22:23]
	v_fma_f64 v[18:19], v[60:61], v[26:27], -v[28:29]
	;; [unrolled: 1-line block ×3, first 2 shown]
	v_fma_f64 v[2:3], v[4:5], v[36:37], v[6:7]
	v_fma_f64 v[4:5], v[8:9], v[40:41], v[10:11]
	v_add_f64 v[6:7], v[58:59], -v[32:33]
	v_add_f64 v[8:9], v[42:43], -v[50:51]
	;; [unrolled: 1-line block ×8, first 2 shown]
	v_fma_f64 v[38:39], v[58:59], 2.0, -v[6:7]
	v_add_f64 v[28:29], v[6:7], v[8:9]
	v_fma_f64 v[8:9], v[42:43], 2.0, -v[8:9]
	v_add_f64 v[32:33], v[10:11], -v[20:21]
	v_fma_f64 v[12:13], v[12:13], 2.0, -v[14:15]
	v_add_f64 v[34:35], v[14:15], v[18:19]
	v_fma_f64 v[24:25], v[24:25], 2.0, -v[0:1]
	v_add_f64 v[36:37], v[0:1], -v[4:5]
	v_fma_f64 v[2:3], v[2:3], 2.0, -v[4:5]
	v_fma_f64 v[4:5], v[48:49], 2.0, -v[10:11]
	;; [unrolled: 1-line block ×7, first 2 shown]
	v_add_f64 v[42:43], v[24:25], -v[8:9]
	v_add_f64 v[40:41], v[38:39], -v[2:3]
	v_fma_f64 v[30:31], v[0:1], 2.0, -v[36:37]
	v_add_f64 v[20:21], v[12:13], -v[20:21]
	v_add_f64 v[14:15], v[4:5], -v[16:17]
	v_fma_f64 v[8:9], v[34:35], s[0:1], v[28:29]
	v_fma_f64 v[16:17], v[32:33], s[0:1], v[36:37]
	;; [unrolled: 1-line block ×3, first 2 shown]
	v_fma_f64 v[24:25], v[24:25], 2.0, -v[42:43]
	v_fma_f64 v[38:39], v[38:39], 2.0, -v[40:41]
	v_fma_f64 v[44:45], v[6:7], s[4:5], v[30:31]
	v_fma_f64 v[12:13], v[12:13], 2.0, -v[20:21]
	v_fma_f64 v[4:5], v[4:5], 2.0, -v[14:15]
	v_lshlrev_b64 v[22:23], 4, v[65:66]
	v_add_f64 v[14:15], v[40:41], v[14:15]
	v_fma_f64 v[2:3], v[6:7], s[0:1], v[0:1]
	v_add_co_u32_e32 v46, vcc, v87, v22
	v_fma_f64 v[0:1], v[10:11], s[4:5], v[44:45]
	v_add_f64 v[6:7], v[38:39], -v[12:13]
	v_add_f64 v[4:5], v[24:25], -v[4:5]
	v_addc_co_u32_e32 v47, vcc, v88, v23, vcc
	v_add_f64 v[12:13], v[42:43], -v[20:21]
	v_fma_f64 v[10:11], v[32:33], s[0:1], v[8:9]
	v_fma_f64 v[8:9], v[34:35], s[4:5], v[16:17]
	v_fma_f64 v[18:19], v[18:19], 2.0, -v[2:3]
	v_fma_f64 v[22:23], v[38:39], 2.0, -v[6:7]
	;; [unrolled: 1-line block ×4, first 2 shown]
	v_lshlrev_b64 v[26:27], 4, v[67:68]
	v_fma_f64 v[30:31], v[40:41], 2.0, -v[14:15]
	v_add_co_u32_e32 v32, vcc, v87, v26
	v_addc_co_u32_e32 v33, vcc, v88, v27, vcc
	global_store_dwordx4 v[46:47], v[20:23], off
	global_store_dwordx4 v[32:33], v[16:19], off
	v_fma_f64 v[26:27], v[28:29], 2.0, -v[10:11]
	v_mov_b32_e32 v18, v72
	v_fma_f64 v[28:29], v[42:43], 2.0, -v[12:13]
	v_mad_u64_u32 v[18:19], s[0:1], s3, v86, v[18:19]
	v_add_u32_e32 v20, 44, v62
	v_fma_f64 v[24:25], v[36:37], 2.0, -v[8:9]
	v_lshlrev_b64 v[16:17], 4, v[69:70]
	v_mov_b32_e32 v72, v18
	v_mad_u64_u32 v[18:19], s[0:1], s2, v20, 0
	v_add_co_u32_e32 v16, vcc, v87, v16
	v_addc_co_u32_e32 v17, vcc, v88, v17, vcc
	global_store_dwordx4 v[16:17], v[28:31], off
	v_lshlrev_b64 v[16:17], 4, v[71:72]
	v_mad_u64_u32 v[19:20], s[0:1], s3, v20, v[19:20]
	v_add_co_u32_e32 v16, vcc, v87, v16
	v_addc_co_u32_e32 v17, vcc, v88, v17, vcc
	v_add_u32_e32 v22, 55, v62
	v_mad_u64_u32 v[20:21], s[0:1], s2, v22, 0
	global_store_dwordx4 v[16:17], v[24:27], off
	v_lshlrev_b64 v[16:17], 4, v[18:19]
	v_mov_b32_e32 v18, v21
	v_add_co_u32_e32 v16, vcc, v87, v16
	v_addc_co_u32_e32 v17, vcc, v88, v17, vcc
	global_store_dwordx4 v[16:17], v[4:7], off
	v_add_u32_e32 v16, 0x42, v62
	v_mad_u64_u32 v[18:19], s[0:1], s3, v22, v[18:19]
	v_mad_u64_u32 v[6:7], s[0:1], s2, v16, 0
	v_mov_b32_e32 v21, v18
	v_add_u32_e32 v19, 0x4d, v62
	v_mad_u64_u32 v[16:17], s[0:1], s3, v16, v[7:8]
	v_lshlrev_b64 v[4:5], 4, v[20:21]
	v_mad_u64_u32 v[17:18], s[0:1], s2, v19, 0
	v_add_co_u32_e32 v4, vcc, v87, v4
	v_addc_co_u32_e32 v5, vcc, v88, v5, vcc
	global_store_dwordx4 v[4:5], v[0:3], off
	v_mov_b32_e32 v7, v16
	v_mov_b32_e32 v2, v18
	v_mad_u64_u32 v[2:3], s[0:1], s3, v19, v[2:3]
	v_lshlrev_b64 v[0:1], 4, v[6:7]
	v_add_co_u32_e32 v0, vcc, v87, v0
	v_addc_co_u32_e32 v1, vcc, v88, v1, vcc
	v_mov_b32_e32 v18, v2
	global_store_dwordx4 v[0:1], v[12:15], off
	v_lshlrev_b64 v[0:1], 4, v[17:18]
	v_add_co_u32_e32 v0, vcc, v87, v0
	v_addc_co_u32_e32 v1, vcc, v88, v1, vcc
	global_store_dwordx4 v[0:1], v[8:11], off
.LBB0_18:
	s_endpgm
	.section	.rodata,"a",@progbits
	.p2align	6, 0x0
	.amdhsa_kernel fft_rtc_fwd_len88_factors_11_8_wgs_121_tpt_11_halfLds_dp_op_CI_CI_sbrr_dirReg
		.amdhsa_group_segment_fixed_size 0
		.amdhsa_private_segment_fixed_size 0
		.amdhsa_kernarg_size 104
		.amdhsa_user_sgpr_count 6
		.amdhsa_user_sgpr_private_segment_buffer 1
		.amdhsa_user_sgpr_dispatch_ptr 0
		.amdhsa_user_sgpr_queue_ptr 0
		.amdhsa_user_sgpr_kernarg_segment_ptr 1
		.amdhsa_user_sgpr_dispatch_id 0
		.amdhsa_user_sgpr_flat_scratch_init 0
		.amdhsa_user_sgpr_private_segment_size 0
		.amdhsa_uses_dynamic_stack 0
		.amdhsa_system_sgpr_private_segment_wavefront_offset 0
		.amdhsa_system_sgpr_workgroup_id_x 1
		.amdhsa_system_sgpr_workgroup_id_y 0
		.amdhsa_system_sgpr_workgroup_id_z 0
		.amdhsa_system_sgpr_workgroup_info 0
		.amdhsa_system_vgpr_workitem_id 0
		.amdhsa_next_free_vgpr 123
		.amdhsa_next_free_sgpr 38
		.amdhsa_reserve_vcc 1
		.amdhsa_reserve_flat_scratch 0
		.amdhsa_float_round_mode_32 0
		.amdhsa_float_round_mode_16_64 0
		.amdhsa_float_denorm_mode_32 3
		.amdhsa_float_denorm_mode_16_64 3
		.amdhsa_dx10_clamp 1
		.amdhsa_ieee_mode 1
		.amdhsa_fp16_overflow 0
		.amdhsa_exception_fp_ieee_invalid_op 0
		.amdhsa_exception_fp_denorm_src 0
		.amdhsa_exception_fp_ieee_div_zero 0
		.amdhsa_exception_fp_ieee_overflow 0
		.amdhsa_exception_fp_ieee_underflow 0
		.amdhsa_exception_fp_ieee_inexact 0
		.amdhsa_exception_int_div_zero 0
	.end_amdhsa_kernel
	.text
.Lfunc_end0:
	.size	fft_rtc_fwd_len88_factors_11_8_wgs_121_tpt_11_halfLds_dp_op_CI_CI_sbrr_dirReg, .Lfunc_end0-fft_rtc_fwd_len88_factors_11_8_wgs_121_tpt_11_halfLds_dp_op_CI_CI_sbrr_dirReg
                                        ; -- End function
	.section	.AMDGPU.csdata,"",@progbits
; Kernel info:
; codeLenInByte = 6272
; NumSgprs: 42
; NumVgprs: 123
; ScratchSize: 0
; MemoryBound: 1
; FloatMode: 240
; IeeeMode: 1
; LDSByteSize: 0 bytes/workgroup (compile time only)
; SGPRBlocks: 5
; VGPRBlocks: 30
; NumSGPRsForWavesPerEU: 42
; NumVGPRsForWavesPerEU: 123
; Occupancy: 2
; WaveLimiterHint : 1
; COMPUTE_PGM_RSRC2:SCRATCH_EN: 0
; COMPUTE_PGM_RSRC2:USER_SGPR: 6
; COMPUTE_PGM_RSRC2:TRAP_HANDLER: 0
; COMPUTE_PGM_RSRC2:TGID_X_EN: 1
; COMPUTE_PGM_RSRC2:TGID_Y_EN: 0
; COMPUTE_PGM_RSRC2:TGID_Z_EN: 0
; COMPUTE_PGM_RSRC2:TIDIG_COMP_CNT: 0
	.type	__hip_cuid_62d6b1be3c73df09,@object ; @__hip_cuid_62d6b1be3c73df09
	.section	.bss,"aw",@nobits
	.globl	__hip_cuid_62d6b1be3c73df09
__hip_cuid_62d6b1be3c73df09:
	.byte	0                               ; 0x0
	.size	__hip_cuid_62d6b1be3c73df09, 1

	.ident	"AMD clang version 19.0.0git (https://github.com/RadeonOpenCompute/llvm-project roc-6.4.0 25133 c7fe45cf4b819c5991fe208aaa96edf142730f1d)"
	.section	".note.GNU-stack","",@progbits
	.addrsig
	.addrsig_sym __hip_cuid_62d6b1be3c73df09
	.amdgpu_metadata
---
amdhsa.kernels:
  - .args:
      - .actual_access:  read_only
        .address_space:  global
        .offset:         0
        .size:           8
        .value_kind:     global_buffer
      - .offset:         8
        .size:           8
        .value_kind:     by_value
      - .actual_access:  read_only
        .address_space:  global
        .offset:         16
        .size:           8
        .value_kind:     global_buffer
      - .actual_access:  read_only
        .address_space:  global
        .offset:         24
        .size:           8
        .value_kind:     global_buffer
      - .actual_access:  read_only
        .address_space:  global
        .offset:         32
        .size:           8
        .value_kind:     global_buffer
      - .offset:         40
        .size:           8
        .value_kind:     by_value
      - .actual_access:  read_only
        .address_space:  global
        .offset:         48
        .size:           8
        .value_kind:     global_buffer
      - .actual_access:  read_only
        .address_space:  global
        .offset:         56
        .size:           8
        .value_kind:     global_buffer
      - .offset:         64
        .size:           4
        .value_kind:     by_value
      - .actual_access:  read_only
        .address_space:  global
        .offset:         72
        .size:           8
        .value_kind:     global_buffer
      - .actual_access:  read_only
        .address_space:  global
        .offset:         80
        .size:           8
        .value_kind:     global_buffer
      - .actual_access:  read_only
        .address_space:  global
        .offset:         88
        .size:           8
        .value_kind:     global_buffer
      - .actual_access:  write_only
        .address_space:  global
        .offset:         96
        .size:           8
        .value_kind:     global_buffer
    .group_segment_fixed_size: 0
    .kernarg_segment_align: 8
    .kernarg_segment_size: 104
    .language:       OpenCL C
    .language_version:
      - 2
      - 0
    .max_flat_workgroup_size: 121
    .name:           fft_rtc_fwd_len88_factors_11_8_wgs_121_tpt_11_halfLds_dp_op_CI_CI_sbrr_dirReg
    .private_segment_fixed_size: 0
    .sgpr_count:     42
    .sgpr_spill_count: 0
    .symbol:         fft_rtc_fwd_len88_factors_11_8_wgs_121_tpt_11_halfLds_dp_op_CI_CI_sbrr_dirReg.kd
    .uniform_work_group_size: 1
    .uses_dynamic_stack: false
    .vgpr_count:     123
    .vgpr_spill_count: 0
    .wavefront_size: 64
amdhsa.target:   amdgcn-amd-amdhsa--gfx906
amdhsa.version:
  - 1
  - 2
...

	.end_amdgpu_metadata
